;; amdgpu-corpus repo=ROCm/rocFFT kind=compiled arch=gfx906 opt=O3
	.text
	.amdgcn_target "amdgcn-amd-amdhsa--gfx906"
	.amdhsa_code_object_version 6
	.protected	fft_rtc_fwd_len80_factors_10_8_wgs_160_tpt_10_dp_op_CI_CI_sbcc_twdbase8_3step ; -- Begin function fft_rtc_fwd_len80_factors_10_8_wgs_160_tpt_10_dp_op_CI_CI_sbcc_twdbase8_3step
	.globl	fft_rtc_fwd_len80_factors_10_8_wgs_160_tpt_10_dp_op_CI_CI_sbcc_twdbase8_3step
	.p2align	8
	.type	fft_rtc_fwd_len80_factors_10_8_wgs_160_tpt_10_dp_op_CI_CI_sbcc_twdbase8_3step,@function
fft_rtc_fwd_len80_factors_10_8_wgs_160_tpt_10_dp_op_CI_CI_sbcc_twdbase8_3step: ; @fft_rtc_fwd_len80_factors_10_8_wgs_160_tpt_10_dp_op_CI_CI_sbcc_twdbase8_3step
; %bb.0:
	s_load_dwordx4 s[0:3], s[4:5], 0x18
	s_load_dwordx2 s[30:31], s[4:5], 0x28
	s_mov_b32 s7, 0
	s_mov_b64 s[24:25], 0
	s_waitcnt lgkmcnt(0)
	s_load_dwordx2 s[28:29], s[0:1], 0x8
	s_waitcnt lgkmcnt(0)
	s_add_u32 s8, s28, -1
	s_addc_u32 s9, s29, -1
	s_lshr_b64 s[8:9], s[8:9], 4
	s_add_u32 s34, s8, 1
	s_addc_u32 s35, s9, 0
	v_mov_b32_e32 v1, s34
	v_mov_b32_e32 v2, s35
	v_cmp_lt_u64_e32 vcc, s[6:7], v[1:2]
	s_cbranch_vccnz .LBB0_2
; %bb.1:
	v_cvt_f32_u32_e32 v1, s34
	s_sub_i32 s8, 0, s34
	s_mov_b32 s25, s7
	v_rcp_iflag_f32_e32 v1, v1
	v_mul_f32_e32 v1, 0x4f7ffffe, v1
	v_cvt_u32_f32_e32 v1, v1
	v_readfirstlane_b32 s9, v1
	s_mul_i32 s8, s8, s9
	s_mul_hi_u32 s8, s9, s8
	s_add_i32 s9, s9, s8
	s_mul_hi_u32 s8, s6, s9
	s_mul_i32 s10, s8, s34
	s_sub_i32 s10, s6, s10
	s_add_i32 s9, s8, 1
	s_sub_i32 s11, s10, s34
	s_cmp_ge_u32 s10, s34
	s_cselect_b32 s8, s9, s8
	s_cselect_b32 s10, s11, s10
	s_add_i32 s9, s8, 1
	s_cmp_ge_u32 s10, s34
	s_cselect_b32 s24, s9, s8
.LBB0_2:
	s_mul_i32 s16, s24, s35
	s_mul_hi_u32 s17, s24, s34
	s_load_dwordx4 s[12:15], s[4:5], 0x60
	s_load_dwordx4 s[20:23], s[2:3], 0x0
	;; [unrolled: 1-line block ×3, first 2 shown]
	s_add_i32 s17, s17, s16
	s_mul_i32 s16, s24, s34
	s_sub_u32 s36, s6, s16
	s_subb_u32 s37, 0, s17
	v_mov_b32_e32 v1, s36
	v_alignbit_b32 v1, s37, v1, 28
	s_waitcnt lgkmcnt(0)
	v_mul_lo_u32 v2, s22, v1
	s_load_dwordx2 s[26:27], s[4:5], 0x0
	s_load_dwordx4 s[16:19], s[4:5], 0x8
	s_lshl_b64 s[4:5], s[36:37], 4
	s_mul_hi_u32 s33, s22, s4
	v_mul_lo_u32 v3, s10, v1
	v_add_u32_e32 v2, s33, v2
	s_mul_i32 s33, s23, s4
	v_add_u32_e32 v2, s33, v2
	s_mul_i32 s33, s22, s4
	v_mov_b32_e32 v1, s33
	s_mul_hi_u32 s33, s10, s4
	v_add_u32_e32 v3, s33, v3
	s_mul_i32 s33, s11, s4
	s_waitcnt lgkmcnt(0)
	v_cmp_lt_u64_e64 s[36:37], s[18:19], 3
	v_add_u32_e32 v41, s33, v3
	s_mul_i32 s33, s10, s4
	v_mov_b32_e32 v40, s33
	s_and_b64 vcc, exec, s[36:37]
	s_cbranch_vccnz .LBB0_11
; %bb.3:
	s_add_u32 s36, s30, 16
	s_addc_u32 s37, s31, 0
	s_add_u32 s38, s2, 16
	s_addc_u32 s39, s3, 0
	s_add_u32 s40, s0, 16
	v_mov_b32_e32 v3, s18
	s_addc_u32 s41, s1, 0
	s_mov_b64 s[42:43], 2
	s_mov_b32 s44, 0
	v_mov_b32_e32 v4, s19
	s_branch .LBB0_5
.LBB0_4:                                ;   in Loop: Header=BB0_5 Depth=1
	s_mul_i32 s33, s46, s35
	s_mul_hi_u32 s35, s46, s34
	s_add_i32 s33, s35, s33
	s_mul_i32 s35, s47, s34
	s_add_i32 s35, s33, s35
	s_mul_i32 s33, s0, s47
	s_mul_hi_u32 s45, s0, s46
	s_load_dwordx2 s[48:49], s[38:39], 0x0
	s_add_i32 s33, s45, s33
	s_mul_i32 s45, s1, s46
	s_add_i32 s33, s33, s45
	s_mul_i32 s45, s0, s46
	s_sub_u32 s45, s24, s45
	s_subb_u32 s33, s25, s33
	s_waitcnt lgkmcnt(0)
	s_mul_i32 s24, s48, s33
	s_mul_hi_u32 s25, s48, s45
	s_add_i32 s24, s25, s24
	s_mul_i32 s25, s49, s45
	s_add_i32 s24, s24, s25
	v_mov_b32_e32 v5, s24
	s_load_dwordx2 s[24:25], s[36:37], 0x0
	s_mul_i32 s34, s46, s34
	s_mul_i32 s46, s48, s45
	v_add_co_u32_e32 v1, vcc, s46, v1
	s_waitcnt lgkmcnt(0)
	s_mul_i32 s33, s24, s33
	s_mul_hi_u32 s46, s24, s45
	s_add_i32 s33, s46, s33
	s_mul_i32 s25, s25, s45
	s_add_i32 s25, s33, s25
	s_add_u32 s42, s42, 1
	s_addc_u32 s43, s43, 0
	v_addc_co_u32_e32 v2, vcc, v5, v2, vcc
	s_mul_i32 s24, s24, s45
	s_add_u32 s36, s36, 8
	v_mov_b32_e32 v5, s25
	v_add_co_u32_e32 v40, vcc, s24, v40
	s_addc_u32 s37, s37, 0
	v_addc_co_u32_e32 v41, vcc, v5, v41, vcc
	s_add_u32 s38, s38, 8
	s_addc_u32 s39, s39, 0
	v_cmp_ge_u64_e32 vcc, s[42:43], v[3:4]
	s_add_u32 s40, s40, 8
	s_addc_u32 s41, s41, 0
	s_mov_b64 s[24:25], s[0:1]
	s_cbranch_vccnz .LBB0_9
.LBB0_5:                                ; =>This Inner Loop Header: Depth=1
	s_load_dwordx2 s[46:47], s[40:41], 0x0
	s_waitcnt lgkmcnt(0)
	s_or_b64 s[0:1], s[24:25], s[46:47]
	s_mov_b32 s45, s1
	s_cmp_lg_u64 s[44:45], 0
	s_cbranch_scc0 .LBB0_7
; %bb.6:                                ;   in Loop: Header=BB0_5 Depth=1
	v_cvt_f32_u32_e32 v5, s46
	v_cvt_f32_u32_e32 v6, s47
	s_sub_u32 s0, 0, s46
	s_subb_u32 s1, 0, s47
	v_mac_f32_e32 v5, 0x4f800000, v6
	v_rcp_f32_e32 v5, v5
	v_mul_f32_e32 v5, 0x5f7ffffc, v5
	v_mul_f32_e32 v6, 0x2f800000, v5
	v_trunc_f32_e32 v6, v6
	v_mac_f32_e32 v5, 0xcf800000, v6
	v_cvt_u32_f32_e32 v6, v6
	v_cvt_u32_f32_e32 v5, v5
	v_readfirstlane_b32 s33, v6
	v_readfirstlane_b32 s45, v5
	s_mul_i32 s48, s0, s33
	s_mul_hi_u32 s50, s0, s45
	s_mul_i32 s49, s1, s45
	s_add_i32 s48, s50, s48
	s_mul_i32 s51, s0, s45
	s_add_i32 s48, s48, s49
	s_mul_hi_u32 s49, s45, s48
	s_mul_i32 s50, s45, s48
	s_mul_hi_u32 s45, s45, s51
	s_add_u32 s45, s45, s50
	s_addc_u32 s49, 0, s49
	s_mul_hi_u32 s52, s33, s51
	s_mul_i32 s51, s33, s51
	s_add_u32 s45, s45, s51
	s_mul_hi_u32 s50, s33, s48
	s_addc_u32 s45, s49, s52
	s_addc_u32 s49, s50, 0
	s_mul_i32 s48, s33, s48
	s_add_u32 s45, s45, s48
	s_addc_u32 s48, 0, s49
	v_add_co_u32_e32 v5, vcc, s45, v5
	s_cmp_lg_u64 vcc, 0
	s_addc_u32 s33, s33, s48
	v_readfirstlane_b32 s48, v5
	s_mul_i32 s45, s0, s33
	s_mul_hi_u32 s49, s0, s48
	s_add_i32 s45, s49, s45
	s_mul_i32 s1, s1, s48
	s_add_i32 s45, s45, s1
	s_mul_i32 s0, s0, s48
	s_mul_hi_u32 s49, s33, s0
	s_mul_i32 s50, s33, s0
	s_mul_i32 s52, s48, s45
	s_mul_hi_u32 s0, s48, s0
	s_mul_hi_u32 s51, s48, s45
	s_add_u32 s0, s0, s52
	s_addc_u32 s48, 0, s51
	s_add_u32 s0, s0, s50
	s_mul_hi_u32 s1, s33, s45
	s_addc_u32 s0, s48, s49
	s_addc_u32 s1, s1, 0
	s_mul_i32 s45, s33, s45
	s_add_u32 s0, s0, s45
	s_addc_u32 s1, 0, s1
	v_add_co_u32_e32 v5, vcc, s0, v5
	s_cmp_lg_u64 vcc, 0
	s_addc_u32 s0, s33, s1
	v_readfirstlane_b32 s45, v5
	s_mul_i32 s33, s24, s0
	s_mul_hi_u32 s48, s24, s45
	s_mul_hi_u32 s1, s24, s0
	s_add_u32 s33, s48, s33
	s_addc_u32 s1, 0, s1
	s_mul_hi_u32 s49, s25, s45
	s_mul_i32 s45, s25, s45
	s_add_u32 s33, s33, s45
	s_mul_hi_u32 s48, s25, s0
	s_addc_u32 s1, s1, s49
	s_addc_u32 s33, s48, 0
	s_mul_i32 s0, s25, s0
	s_add_u32 s45, s1, s0
	s_addc_u32 s33, 0, s33
	s_mul_i32 s0, s46, s33
	s_mul_hi_u32 s1, s46, s45
	s_add_i32 s0, s1, s0
	s_mul_i32 s1, s47, s45
	s_add_i32 s48, s0, s1
	s_mul_i32 s1, s46, s45
	v_mov_b32_e32 v5, s1
	s_sub_i32 s0, s25, s48
	v_sub_co_u32_e32 v5, vcc, s24, v5
	s_cmp_lg_u64 vcc, 0
	s_subb_u32 s49, s0, s47
	v_subrev_co_u32_e64 v6, s[0:1], s46, v5
	s_cmp_lg_u64 s[0:1], 0
	s_subb_u32 s0, s49, 0
	s_cmp_ge_u32 s0, s47
	v_readfirstlane_b32 s49, v6
	s_cselect_b32 s1, -1, 0
	s_cmp_ge_u32 s49, s46
	s_cselect_b32 s49, -1, 0
	s_cmp_eq_u32 s0, s47
	s_cselect_b32 s0, s49, s1
	s_add_u32 s1, s45, 1
	s_addc_u32 s49, s33, 0
	s_add_u32 s50, s45, 2
	s_addc_u32 s51, s33, 0
	s_cmp_lg_u32 s0, 0
	s_cselect_b32 s0, s50, s1
	s_cselect_b32 s1, s51, s49
	s_cmp_lg_u64 vcc, 0
	s_subb_u32 s48, s25, s48
	s_cmp_ge_u32 s48, s47
	v_readfirstlane_b32 s50, v5
	s_cselect_b32 s49, -1, 0
	s_cmp_ge_u32 s50, s46
	s_cselect_b32 s50, -1, 0
	s_cmp_eq_u32 s48, s47
	s_cselect_b32 s48, s50, s49
	s_cmp_lg_u32 s48, 0
	s_cselect_b32 s1, s1, s33
	s_cselect_b32 s0, s0, s45
	s_cbranch_execnz .LBB0_4
	s_branch .LBB0_8
.LBB0_7:                                ;   in Loop: Header=BB0_5 Depth=1
                                        ; implicit-def: $sgpr0_sgpr1
.LBB0_8:                                ;   in Loop: Header=BB0_5 Depth=1
	v_cvt_f32_u32_e32 v5, s46
	s_sub_i32 s0, 0, s46
	v_rcp_iflag_f32_e32 v5, v5
	v_mul_f32_e32 v5, 0x4f7ffffe, v5
	v_cvt_u32_f32_e32 v5, v5
	v_readfirstlane_b32 s1, v5
	s_mul_i32 s0, s0, s1
	s_mul_hi_u32 s0, s1, s0
	s_add_i32 s1, s1, s0
	s_mul_hi_u32 s0, s24, s1
	s_mul_i32 s33, s0, s46
	s_sub_i32 s33, s24, s33
	s_add_i32 s1, s0, 1
	s_sub_i32 s45, s33, s46
	s_cmp_ge_u32 s33, s46
	s_cselect_b32 s0, s1, s0
	s_cselect_b32 s33, s45, s33
	s_add_i32 s1, s0, 1
	s_cmp_ge_u32 s33, s46
	s_cselect_b32 s0, s1, s0
	s_mov_b32 s1, s44
	s_branch .LBB0_4
.LBB0_9:
	v_mov_b32_e32 v3, s34
	v_mov_b32_e32 v4, s35
	v_cmp_lt_u64_e32 vcc, s[6:7], v[3:4]
	s_mov_b64 s[24:25], 0
	s_cbranch_vccnz .LBB0_11
; %bb.10:
	v_cvt_f32_u32_e32 v3, s34
	s_sub_i32 s0, 0, s34
	v_rcp_iflag_f32_e32 v3, v3
	v_mul_f32_e32 v3, 0x4f7ffffe, v3
	v_cvt_u32_f32_e32 v3, v3
	v_readfirstlane_b32 s1, v3
	s_mul_i32 s0, s0, s1
	s_mul_hi_u32 s0, s1, s0
	s_add_i32 s1, s1, s0
	s_mul_hi_u32 s0, s6, s1
	s_mul_i32 s7, s0, s34
	s_sub_i32 s6, s6, s7
	s_add_i32 s1, s0, 1
	s_sub_i32 s7, s6, s34
	s_cmp_ge_u32 s6, s34
	s_cselect_b32 s0, s1, s0
	s_cselect_b32 s6, s7, s6
	s_add_i32 s1, s0, 1
	s_cmp_ge_u32 s6, s34
	s_cselect_b32 s24, s1, s0
.LBB0_11:
	s_lshl_b64 s[34:35], s[18:19], 3
	s_add_u32 s6, s30, s34
	s_addc_u32 s7, s31, s35
	s_add_u32 s0, s4, 16
	v_mov_b32_e32 v3, s28
	s_addc_u32 s1, s5, 0
	v_mov_b32_e32 v4, s29
	v_and_b32_e32 v49, 15, v0
	v_cmp_le_u64_e32 vcc, s[0:1], v[3:4]
	v_or_b32_e32 v3, s4, v49
	v_mov_b32_e32 v4, s5
	v_cmp_gt_u64_e64 s[0:1], s[28:29], v[3:4]
	v_lshrrev_b32_e32 v42, 4, v0
	s_or_b64 s[0:1], vcc, s[0:1]
	v_lshlrev_b32_e32 v50, 4, v42
	v_add_u32_e32 v48, 10, v42
	v_add_u32_e32 v47, 20, v42
	;; [unrolled: 1-line block ×6, first 2 shown]
	s_and_saveexec_b64 s[18:19], s[0:1]
	s_cbranch_execz .LBB0_13
; %bb.12:
	s_add_u32 s2, s2, s34
	s_addc_u32 s3, s3, s35
	s_load_dwordx2 s[2:3], s[2:3], 0x0
	v_mad_u64_u32 v[3:4], s[28:29], s22, v49, 0
	v_mad_u64_u32 v[5:6], s[28:29], s20, v42, 0
	s_waitcnt lgkmcnt(0)
	s_mul_i32 s3, s3, s24
	s_mul_hi_u32 s5, s2, s24
	v_mad_u64_u32 v[7:8], s[22:23], s23, v49, v[4:5]
	v_mov_b32_e32 v4, v6
	v_mad_u64_u32 v[8:9], s[22:23], s21, v42, v[4:5]
	s_add_i32 s3, s5, s3
	s_mul_i32 s2, s2, s24
	s_lshl_b64 s[2:3], s[2:3], 4
	s_add_u32 s2, s12, s2
	v_lshlrev_b64 v[1:2], 4, v[1:2]
	s_addc_u32 s3, s13, s3
	v_mov_b32_e32 v4, v7
	v_mov_b32_e32 v6, v8
	;; [unrolled: 1-line block ×3, first 2 shown]
	v_add_co_u32_e32 v8, vcc, s2, v1
	v_addc_co_u32_e32 v7, vcc, v7, v2, vcc
	v_lshlrev_b64 v[1:2], 4, v[3:4]
	v_mad_u64_u32 v[3:4], s[2:3], s20, v48, 0
	v_add_co_u32_e32 v36, vcc, v8, v1
	v_addc_co_u32_e32 v37, vcc, v7, v2, vcc
	v_lshlrev_b64 v[1:2], 4, v[5:6]
	v_mad_u64_u32 v[4:5], s[2:3], s21, v48, v[4:5]
	v_mad_u64_u32 v[11:12], s[2:3], s20, v47, 0
	v_add_co_u32_e32 v9, vcc, v36, v1
	v_addc_co_u32_e32 v10, vcc, v37, v2, vcc
	v_lshlrev_b64 v[1:2], 4, v[3:4]
	v_mad_u64_u32 v[15:16], s[2:3], s20, v46, 0
	v_add_co_u32_e32 v13, vcc, v36, v1
	v_mov_b32_e32 v1, v12
	v_mad_u64_u32 v[17:18], s[2:3], s21, v47, v[1:2]
	v_mov_b32_e32 v1, v16
	v_mad_u64_u32 v[18:19], s[2:3], s21, v46, v[1:2]
	v_mov_b32_e32 v12, v17
	v_addc_co_u32_e32 v14, vcc, v37, v2, vcc
	global_load_dwordx4 v[1:4], v[9:10], off
	global_load_dwordx4 v[5:8], v[13:14], off
	v_lshlrev_b64 v[9:10], 4, v[11:12]
	v_mov_b32_e32 v16, v18
	v_add_co_u32_e32 v17, vcc, v36, v9
	v_mad_u64_u32 v[21:22], s[2:3], s20, v45, 0
	v_addc_co_u32_e32 v18, vcc, v37, v10, vcc
	v_lshlrev_b64 v[9:10], 4, v[15:16]
	v_mad_u64_u32 v[27:28], s[2:3], s20, v43, 0
	v_add_co_u32_e32 v19, vcc, v36, v9
	v_addc_co_u32_e32 v20, vcc, v37, v10, vcc
	global_load_dwordx4 v[9:12], v[17:18], off
	global_load_dwordx4 v[13:16], v[19:20], off
	v_mov_b32_e32 v19, v22
	v_mad_u64_u32 v[17:18], s[2:3], s20, v44, 0
	v_mad_u64_u32 v[19:20], s[2:3], s21, v45, v[19:20]
	v_add_u32_e32 v34, 0x46, v42
	v_mad_u64_u32 v[23:24], s[2:3], s21, v44, v[18:19]
	v_mov_b32_e32 v22, v19
	v_lshlrev_b64 v[18:19], 4, v[21:22]
	v_add_co_u32_e32 v25, vcc, v36, v18
	v_mov_b32_e32 v18, v23
	v_lshlrev_b64 v[17:18], 4, v[17:18]
	v_addc_co_u32_e32 v26, vcc, v37, v19, vcc
	v_add_co_u32_e32 v29, vcc, v36, v17
	v_mov_b32_e32 v17, v28
	v_mad_u64_u32 v[31:32], s[2:3], s21, v43, v[17:18]
	v_mad_u64_u32 v[32:33], s[2:3], s20, v34, 0
	v_mov_b32_e32 v28, v31
	v_addc_co_u32_e32 v30, vcc, v37, v18, vcc
	global_load_dwordx4 v[17:20], v[25:26], off
	global_load_dwordx4 v[21:24], v[29:30], off
	v_lshlrev_b64 v[25:26], 4, v[27:28]
	v_mov_b32_e32 v27, v33
	v_mad_u64_u32 v[27:28], s[2:3], s21, v34, v[27:28]
	v_add_co_u32_e32 v34, vcc, v36, v25
	v_mov_b32_e32 v33, v27
	v_addc_co_u32_e32 v35, vcc, v37, v26, vcc
	v_lshlrev_b64 v[25:26], 4, v[32:33]
	v_mul_u32_u24_e32 v33, 0x500, v49
	v_add_co_u32_e32 v36, vcc, v36, v25
	v_addc_co_u32_e32 v37, vcc, v37, v26, vcc
	global_load_dwordx4 v[25:28], v[34:35], off
	global_load_dwordx4 v[29:32], v[36:37], off
	v_add3_u32 v33, 0, v33, v50
	s_waitcnt vmcnt(7)
	ds_write_b128 v33, v[1:4]
	s_waitcnt vmcnt(6)
	ds_write_b128 v33, v[5:8] offset:160
	s_waitcnt vmcnt(5)
	ds_write_b128 v33, v[9:12] offset:320
	;; [unrolled: 2-line block ×7, first 2 shown]
.LBB0_13:
	s_or_b64 exec, exec, s[18:19]
	s_mov_b32 s2, 0xcccd
	v_mul_u32_u24_sdwa v1, v0, s2 dst_sel:DWORD dst_unused:UNUSED_PAD src0_sel:WORD_0 src1_sel:DWORD
	v_lshrrev_b32_e32 v54, 19, v1
	v_and_b32_e32 v1, 15, v54
	v_mul_lo_u16_e32 v2, 10, v54
	v_mul_lo_u16_e32 v1, 0x50, v1
	v_sub_u16_e32 v52, v0, v2
	v_lshlrev_b32_e32 v55, 4, v1
	v_lshlrev_b32_e32 v0, 4, v52
	v_add3_u32 v53, 0, v55, v0
	v_add_u32_e32 v56, 0, v0
	s_waitcnt lgkmcnt(0)
	s_barrier
	v_add_u32_e32 v51, v56, v55
	ds_read_b128 v[24:27], v53
	ds_read_b128 v[36:39], v51 offset:128
	ds_read_b128 v[20:23], v51 offset:256
	ds_read_b128 v[28:31], v51 offset:384
	ds_read_b128 v[16:19], v51 offset:512
	ds_read_b128 v[32:35], v51 offset:640
	ds_read_b128 v[12:15], v51 offset:768
	ds_read_b128 v[8:11], v51 offset:896
	ds_read_b128 v[4:7], v51 offset:1024
	ds_read_b128 v[0:3], v51 offset:1152
	v_cmp_gt_u16_e32 vcc, 8, v52
	s_waitcnt lgkmcnt(0)
	s_barrier
	s_and_saveexec_b64 s[2:3], vcc
	s_cbranch_execz .LBB0_15
; %bb.14:
	v_add_f64 v[57:58], v[22:23], -v[18:19]
	v_add_f64 v[59:60], v[6:7], -v[14:15]
	;; [unrolled: 1-line block ×4, first 2 shown]
	v_add_f64 v[67:68], v[34:35], v[10:11]
	v_add_f64 v[71:72], v[30:31], v[2:3]
	v_add_f64 v[73:74], v[2:3], -v[10:11]
	v_add_f64 v[75:76], v[36:37], v[28:29]
	v_add_f64 v[65:66], v[32:33], v[8:9]
	;; [unrolled: 1-line block ×3, first 2 shown]
	v_add_f64 v[59:60], v[30:31], -v[34:35]
	v_add_f64 v[61:62], v[61:62], v[63:64]
	v_add_f64 v[63:64], v[38:39], v[30:31]
	v_fma_f64 v[67:68], v[67:68], -0.5, v[38:39]
	v_fma_f64 v[38:39], v[71:72], -0.5, v[38:39]
	v_add_f64 v[71:72], v[22:23], v[6:7]
	v_add_f64 v[69:70], v[28:29], v[0:1]
	v_add_f64 v[77:78], v[14:15], -v[6:7]
	v_add_f64 v[59:60], v[59:60], v[73:74]
	v_add_f64 v[73:74], v[75:76], v[32:33]
	v_add_f64 v[75:76], v[18:19], -v[22:23]
	v_add_f64 v[79:80], v[32:33], -v[8:9]
	;; [unrolled: 1-line block ×3, first 2 shown]
	v_fma_f64 v[71:72], v[71:72], -0.5, v[26:27]
	s_mov_b32 s18, 0x134454ff
	s_mov_b32 s19, 0x3fee6f0e
	;; [unrolled: 1-line block ×4, first 2 shown]
	v_fma_f64 v[65:66], v[65:66], -0.5, v[36:37]
	v_fma_f64 v[36:37], v[69:70], -0.5, v[36:37]
	v_add_f64 v[69:70], v[34:35], -v[10:11]
	v_add_f64 v[63:64], v[63:64], v[34:35]
	v_add_f64 v[32:33], v[32:33], -v[28:29]
	v_add_f64 v[34:35], v[34:35], -v[30:31]
	;; [unrolled: 1-line block ×3, first 2 shown]
	v_add_f64 v[75:76], v[75:76], v[77:78]
	v_add_f64 v[77:78], v[8:9], -v[0:1]
	v_fma_f64 v[83:84], v[81:82], s[20:21], v[71:72]
	v_add_f64 v[85:86], v[20:21], -v[4:5]
	v_fma_f64 v[71:72], v[81:82], s[18:19], v[71:72]
	;; [unrolled: 2-line block ×3, first 2 shown]
	v_fma_f64 v[38:39], v[79:80], s[18:19], v[38:39]
	v_add_f64 v[91:92], v[18:19], v[14:15]
	s_mov_b32 s12, 0x4755a5e
	s_mov_b32 s13, 0x3fe2cf23
	;; [unrolled: 1-line block ×4, first 2 shown]
	v_fma_f64 v[83:84], v[85:86], s[12:13], v[83:84]
	v_fma_f64 v[71:72], v[85:86], s[22:23], v[71:72]
	v_add_f64 v[34:35], v[34:35], v[87:88]
	v_fma_f64 v[87:88], v[28:29], s[12:13], v[89:90]
	v_fma_f64 v[38:39], v[28:29], s[22:23], v[38:39]
	v_add_f64 v[32:33], v[32:33], v[77:78]
	v_fma_f64 v[77:78], v[91:92], -0.5, v[26:27]
	v_add_f64 v[30:31], v[30:31], -v[2:3]
	s_mov_b32 s28, 0x372fe950
	s_mov_b32 s29, 0x3fd3c6ef
	v_fma_f64 v[83:84], v[75:76], s[28:29], v[83:84]
	v_fma_f64 v[71:72], v[75:76], s[28:29], v[71:72]
	;; [unrolled: 1-line block ×24, first 2 shown]
	v_add_f64 v[69:70], v[16:17], v[12:13]
	v_add_f64 v[77:78], v[20:21], v[4:5]
	v_add_f64 v[26:27], v[26:27], v[22:23]
	v_fma_f64 v[57:58], v[59:60], s[28:29], v[81:82]
	v_fma_f64 v[28:29], v[59:60], s[28:29], v[28:29]
	;; [unrolled: 1-line block ×4, first 2 shown]
	v_add_f64 v[65:66], v[24:25], v[20:21]
	v_add_f64 v[79:80], v[20:21], -v[16:17]
	v_add_f64 v[81:82], v[4:5], -v[12:13]
	v_fma_f64 v[67:68], v[69:70], -0.5, v[24:25]
	v_fma_f64 v[24:25], v[77:78], -0.5, v[24:25]
	v_add_f64 v[26:27], v[26:27], v[18:19]
	v_add_f64 v[18:19], v[18:19], -v[14:15]
	v_add_f64 v[20:21], v[16:17], -v[20:21]
	v_add_f64 v[16:17], v[65:66], v[16:17]
	s_mov_b32 s30, 0x9b97f4a8
	s_mov_b32 s31, 0x3fe9e377
	v_add_f64 v[69:70], v[79:80], v[81:82]
	v_add_f64 v[22:23], v[22:23], -v[6:7]
	v_mul_f64 v[65:66], v[57:58], s[30:31]
	v_mul_f64 v[77:78], v[59:60], s[30:31]
	v_add_f64 v[14:15], v[26:27], v[14:15]
	v_add_f64 v[26:27], v[12:13], -v[4:5]
	v_fma_f64 v[79:80], v[18:19], s[18:19], v[24:25]
	v_fma_f64 v[24:25], v[18:19], s[20:21], v[24:25]
	v_add_f64 v[16:17], v[16:17], v[12:13]
	v_mul_f64 v[12:13], v[75:76], s[28:29]
	v_fma_f64 v[59:60], v[59:60], s[22:23], -v[65:66]
	v_fma_f64 v[65:66], v[57:58], s[12:13], -v[77:78]
	v_mul_f64 v[57:58], v[38:39], s[28:29]
	v_add_f64 v[20:21], v[20:21], v[26:27]
	v_fma_f64 v[26:27], v[22:23], s[22:23], v[79:80]
	v_fma_f64 v[24:25], v[22:23], s[12:13], v[24:25]
	v_mul_f64 v[77:78], v[30:31], s[20:21]
	v_fma_f64 v[38:39], v[38:39], s[20:21], -v[12:13]
	v_fma_f64 v[12:13], v[22:23], s[20:21], v[67:68]
	v_fma_f64 v[22:23], v[22:23], s[18:19], v[67:68]
	v_fma_f64 v[67:68], v[75:76], s[18:19], -v[57:58]
	v_mul_f64 v[57:58], v[34:35], s[18:19]
	v_fma_f64 v[26:27], v[20:21], s[28:29], v[26:27]
	v_fma_f64 v[75:76], v[20:21], s[28:29], v[24:25]
	v_mul_f64 v[20:21], v[61:62], s[22:23]
	v_add_f64 v[10:11], v[63:64], v[10:11]
	v_add_f64 v[24:25], v[73:74], v[8:9]
	v_fma_f64 v[12:13], v[18:19], s[22:23], v[12:13]
	v_fma_f64 v[18:19], v[18:19], s[12:13], v[22:23]
	v_mul_f64 v[22:23], v[61:62], s[30:31]
	v_fma_f64 v[77:78], v[34:35], s[28:29], v[77:78]
	v_fma_f64 v[30:31], v[30:31], s[28:29], v[57:58]
	;; [unrolled: 1-line block ×3, first 2 shown]
	v_add_f64 v[34:35], v[14:15], v[6:7]
	v_add_f64 v[57:58], v[10:11], v[2:3]
	;; [unrolled: 1-line block ×4, first 2 shown]
	v_fma_f64 v[18:19], v[69:70], s[28:29], v[18:19]
	v_fma_f64 v[22:23], v[28:29], s[12:13], v[22:23]
	;; [unrolled: 1-line block ×3, first 2 shown]
	v_add_f64 v[16:17], v[36:37], -v[20:21]
	v_add_f64 v[20:21], v[36:37], v[20:21]
	v_add_f64 v[24:25], v[34:35], -v[57:58]
	v_add_f64 v[36:37], v[34:35], v[57:58]
	v_add_f64 v[34:35], v[4:5], v[63:64]
	v_add_f64 v[8:9], v[32:33], -v[59:60]
	v_add_f64 v[14:15], v[18:19], -v[22:23]
	v_add_f64 v[18:19], v[18:19], v[22:23]
	v_add_f64 v[28:29], v[32:33], v[59:60]
	;; [unrolled: 1-line block ×4, first 2 shown]
	v_add_f64 v[0:1], v[75:76], -v[30:31]
	v_add_f64 v[32:33], v[83:84], v[38:39]
	v_add_f64 v[30:31], v[26:27], v[67:68]
	v_add_f64 v[10:11], v[26:27], -v[67:68]
	v_add_f64 v[26:27], v[61:62], v[65:66]
	v_add_f64 v[22:23], v[4:5], -v[63:64]
	v_mul_u32_u24_e32 v4, 0x90, v52
	v_add_f64 v[2:3], v[71:72], -v[77:78]
	v_add3_u32 v4, v56, v4, v55
	v_add_f64 v[12:13], v[83:84], -v[38:39]
	v_add_f64 v[6:7], v[61:62], -v[65:66]
	ds_write_b128 v4, v[34:37]
	ds_write_b128 v4, v[18:21] offset:16
	ds_write_b128 v4, v[57:60] offset:32
	;; [unrolled: 1-line block ×9, first 2 shown]
.LBB0_15:
	s_or_b64 exec, exec, s[2:3]
	v_mul_u32_u24_e32 v32, 7, v52
	v_lshlrev_b32_e32 v39, 4, v32
	s_load_dwordx2 s[2:3], s[6:7], 0x0
	v_add_u32_sdwa v34, s4, v54 dst_sel:DWORD dst_unused:UNUSED_PAD src0_sel:DWORD src1_sel:WORD_0
	s_waitcnt lgkmcnt(0)
	s_barrier
	ds_read_b128 v[0:3], v53
	ds_read_b128 v[4:7], v51 offset:160
	ds_read_b128 v[8:11], v51 offset:320
	;; [unrolled: 1-line block ×7, first 2 shown]
	global_load_dwordx4 v[35:38], v39, s[26:27] offset:48
	global_load_dwordx4 v[53:56], v39, s[26:27] offset:32
	global_load_dwordx4 v[57:60], v39, s[26:27] offset:16
	global_load_dwordx4 v[61:64], v39, s[26:27]
	s_mov_b32 s4, 0x667f3bcd
	s_mov_b32 s5, 0xbfe6a09e
	;; [unrolled: 1-line block ×4, first 2 shown]
	s_waitcnt vmcnt(0) lgkmcnt(6)
	v_mul_f64 v[32:33], v[6:7], v[63:64]
	v_fma_f64 v[32:33], v[4:5], v[61:62], -v[32:33]
	v_mul_f64 v[4:5], v[4:5], v[63:64]
	v_fma_f64 v[61:62], v[6:7], v[61:62], v[4:5]
	s_waitcnt lgkmcnt(5)
	v_mul_f64 v[4:5], v[10:11], v[59:60]
	v_fma_f64 v[63:64], v[8:9], v[57:58], -v[4:5]
	v_mul_f64 v[4:5], v[8:9], v[59:60]
	v_fma_f64 v[57:58], v[10:11], v[57:58], v[4:5]
	s_waitcnt lgkmcnt(4)
	;; [unrolled: 5-line block ×3, first 2 shown]
	v_mul_f64 v[4:5], v[18:19], v[37:38]
	v_fma_f64 v[55:56], v[16:17], v[35:36], -v[4:5]
	v_mul_f64 v[4:5], v[16:17], v[37:38]
	v_fma_f64 v[16:17], v[18:19], v[35:36], v[4:5]
	global_load_dwordx4 v[4:7], v39, s[26:27] offset:96
	global_load_dwordx4 v[8:11], v39, s[26:27] offset:80
	;; [unrolled: 1-line block ×3, first 2 shown]
	v_add_f64 v[16:17], v[2:3], -v[16:17]
	v_fma_f64 v[2:3], v[2:3], 2.0, -v[16:17]
	s_waitcnt vmcnt(0) lgkmcnt(2)
	v_mul_f64 v[18:19], v[22:23], v[14:15]
	v_mul_f64 v[14:15], v[20:21], v[14:15]
	v_fma_f64 v[18:19], v[20:21], v[12:13], -v[18:19]
	v_fma_f64 v[12:13], v[22:23], v[12:13], v[14:15]
	s_waitcnt lgkmcnt(1)
	v_mul_f64 v[14:15], v[26:27], v[10:11]
	v_mul_f64 v[10:11], v[24:25], v[10:11]
	v_add_f64 v[18:19], v[32:33], -v[18:19]
	v_add_f64 v[12:13], v[61:62], -v[12:13]
	v_fma_f64 v[14:15], v[24:25], v[8:9], -v[14:15]
	v_fma_f64 v[8:9], v[26:27], v[8:9], v[10:11]
	s_waitcnt lgkmcnt(0)
	v_mul_f64 v[10:11], v[30:31], v[6:7]
	v_mul_f64 v[6:7], v[28:29], v[6:7]
	v_fma_f64 v[24:25], v[32:33], 2.0, -v[18:19]
	v_fma_f64 v[26:27], v[61:62], 2.0, -v[12:13]
	v_add_f64 v[14:15], v[63:64], -v[14:15]
	v_add_f64 v[8:9], v[57:58], -v[8:9]
	v_fma_f64 v[10:11], v[28:29], v[4:5], -v[10:11]
	v_fma_f64 v[4:5], v[30:31], v[4:5], v[6:7]
	v_add_f64 v[6:7], v[0:1], -v[55:56]
	v_fma_f64 v[20:21], v[63:64], 2.0, -v[14:15]
	v_fma_f64 v[22:23], v[57:58], 2.0, -v[8:9]
	v_add_f64 v[10:11], v[59:60], -v[10:11]
	v_add_f64 v[4:5], v[53:54], -v[4:5]
	v_fma_f64 v[0:1], v[0:1], 2.0, -v[6:7]
	v_add_f64 v[35:36], v[16:17], v[14:15]
	v_add_f64 v[8:9], v[6:7], -v[8:9]
	v_add_f64 v[22:23], v[2:3], -v[22:23]
	v_fma_f64 v[28:29], v[59:60], 2.0, -v[10:11]
	v_fma_f64 v[30:31], v[53:54], 2.0, -v[4:5]
	v_add_f64 v[20:21], v[0:1], -v[20:21]
	v_fma_f64 v[14:15], v[16:17], 2.0, -v[35:36]
	v_add_f64 v[10:11], v[12:13], v[10:11]
	v_add_f64 v[4:5], v[18:19], -v[4:5]
	v_fma_f64 v[6:7], v[6:7], 2.0, -v[8:9]
	v_fma_f64 v[2:3], v[2:3], 2.0, -v[22:23]
	v_add_f64 v[16:17], v[24:25], -v[28:29]
	v_add_f64 v[37:38], v[26:27], -v[30:31]
	v_fma_f64 v[0:1], v[0:1], 2.0, -v[20:21]
	v_fma_f64 v[12:13], v[12:13], 2.0, -v[10:11]
	;; [unrolled: 1-line block ×5, first 2 shown]
	v_add_f64 v[18:19], v[0:1], -v[24:25]
	v_add_f64 v[32:33], v[2:3], -v[26:27]
	;; [unrolled: 1-line block ×3, first 2 shown]
	v_add_f64 v[26:27], v[22:23], v[16:17]
	v_mov_b32_e32 v37, 0x1000
	v_fma_f64 v[53:54], v[0:1], 2.0, -v[18:19]
	v_fma_f64 v[55:56], v[2:3], 2.0, -v[32:33]
	v_fma_f64 v[2:3], v[12:13], s[4:5], v[14:15]
	v_fma_f64 v[0:1], v[30:31], s[4:5], v[6:7]
	v_fma_f64 v[38:39], v[20:21], 2.0, -v[24:25]
	v_fma_f64 v[59:60], v[22:23], 2.0, -v[26:27]
	v_fma_f64 v[30:31], v[30:31], s[6:7], v[2:3]
	v_fma_f64 v[2:3], v[10:11], s[6:7], v[35:36]
	v_fma_f64 v[28:29], v[12:13], s[4:5], v[0:1]
	v_fma_f64 v[0:1], v[4:5], s[6:7], v[8:9]
	v_fma_f64 v[57:58], v[14:15], 2.0, -v[30:31]
	v_fma_f64 v[20:21], v[4:5], s[6:7], v[2:3]
	v_fma_f64 v[12:13], v[6:7], 2.0, -v[28:29]
	v_fma_f64 v[22:23], v[10:11], s[4:5], v[0:1]
	v_mul_lo_u32 v10, v34, v52
	v_bfe_u32 v4, v10, 8, 8
	v_fma_f64 v[16:17], v[35:36], 2.0, -v[20:21]
	v_mov_b32_e32 v36, 4
	v_lshlrev_b32_sdwa v0, v36, v10 dst_sel:DWORD dst_unused:UNUSED_PAD src0_sel:DWORD src1_sel:BYTE_0
	v_lshl_or_b32 v4, v4, 4, v37
	global_load_dwordx4 v[0:3], v0, s[16:17]
	v_fma_f64 v[14:15], v[8:9], 2.0, -v[22:23]
	global_load_dwordx4 v[4:7], v4, s[16:17]
	v_mov_b32_e32 v35, 0x2000
	s_waitcnt vmcnt(0)
	v_mul_f64 v[8:9], v[2:3], v[6:7]
	v_fma_f64 v[8:9], v[0:1], v[4:5], -v[8:9]
	v_mul_f64 v[0:1], v[0:1], v[6:7]
	v_fma_f64 v[4:5], v[2:3], v[4:5], v[0:1]
	v_bfe_u32 v0, v10, 16, 8
	v_lshl_or_b32 v0, v0, 4, v35
	global_load_dwordx4 v[0:3], v0, s[16:17]
	s_waitcnt vmcnt(0)
	v_mul_f64 v[6:7], v[4:5], v[2:3]
	v_mul_f64 v[2:3], v[8:9], v[2:3]
	v_fma_f64 v[6:7], v[0:1], v[8:9], -v[6:7]
	v_fma_f64 v[2:3], v[0:1], v[4:5], v[2:3]
	v_add_u32_e32 v4, 10, v52
	v_mul_f64 v[0:1], v[55:56], v[2:3]
	v_mul_f64 v[2:3], v[53:54], v[2:3]
	v_fma_f64 v[0:1], v[53:54], v[6:7], -v[0:1]
	v_fma_f64 v[2:3], v[55:56], v[6:7], v[2:3]
	v_mul_lo_u32 v55, v34, v4
	v_bfe_u32 v8, v55, 8, 8
	v_lshlrev_b32_sdwa v4, v36, v55 dst_sel:DWORD dst_unused:UNUSED_PAD src0_sel:DWORD src1_sel:BYTE_0
	v_lshl_or_b32 v8, v8, 4, v37
	global_load_dwordx4 v[4:7], v4, s[16:17]
	s_nop 0
	global_load_dwordx4 v[8:11], v8, s[16:17]
	s_waitcnt vmcnt(0)
	v_mul_f64 v[53:54], v[6:7], v[10:11]
	v_fma_f64 v[53:54], v[4:5], v[8:9], -v[53:54]
	v_mul_f64 v[4:5], v[4:5], v[10:11]
	v_fma_f64 v[8:9], v[6:7], v[8:9], v[4:5]
	v_bfe_u32 v4, v55, 16, 8
	v_lshl_or_b32 v4, v4, 4, v35
	global_load_dwordx4 v[4:7], v4, s[16:17]
	s_waitcnt vmcnt(0)
	v_mul_f64 v[10:11], v[8:9], v[6:7]
	v_mul_f64 v[6:7], v[53:54], v[6:7]
	v_fma_f64 v[10:11], v[4:5], v[53:54], -v[10:11]
	v_fma_f64 v[6:7], v[4:5], v[8:9], v[6:7]
	v_add_u32_e32 v8, 20, v52
	v_mul_f64 v[4:5], v[57:58], v[6:7]
	v_mul_f64 v[6:7], v[12:13], v[6:7]
	v_fma_f64 v[4:5], v[12:13], v[10:11], -v[4:5]
	v_fma_f64 v[6:7], v[57:58], v[10:11], v[6:7]
	v_mul_lo_u32 v57, v34, v8
	v_bfe_u32 v12, v57, 8, 8
	v_lshlrev_b32_sdwa v8, v36, v57 dst_sel:DWORD dst_unused:UNUSED_PAD src0_sel:DWORD src1_sel:BYTE_0
	v_lshl_or_b32 v12, v12, 4, v37
	global_load_dwordx4 v[8:11], v8, s[16:17]
	s_nop 0
	global_load_dwordx4 v[53:56], v12, s[16:17]
	s_waitcnt vmcnt(0)
	v_mul_f64 v[12:13], v[10:11], v[55:56]
	v_fma_f64 v[12:13], v[8:9], v[53:54], -v[12:13]
	v_mul_f64 v[8:9], v[8:9], v[55:56]
	v_fma_f64 v[53:54], v[10:11], v[53:54], v[8:9]
	v_bfe_u32 v8, v57, 16, 8
	v_lshl_or_b32 v8, v8, 4, v35
	global_load_dwordx4 v[8:11], v8, s[16:17]
	s_waitcnt vmcnt(0)
	v_mul_f64 v[55:56], v[53:54], v[10:11]
	v_mul_f64 v[10:11], v[12:13], v[10:11]
	v_fma_f64 v[55:56], v[8:9], v[12:13], -v[55:56]
	v_fma_f64 v[10:11], v[8:9], v[53:54], v[10:11]
	v_add_u32_e32 v12, 30, v52
	v_mul_lo_u32 v61, v34, v12
	v_lshlrev_b32_sdwa v12, v36, v61 dst_sel:DWORD dst_unused:UNUSED_PAD src0_sel:DWORD src1_sel:BYTE_0
	v_mul_f64 v[8:9], v[59:60], v[10:11]
	v_mul_f64 v[10:11], v[38:39], v[10:11]
	v_fma_f64 v[8:9], v[38:39], v[55:56], -v[8:9]
	v_fma_f64 v[10:11], v[59:60], v[55:56], v[10:11]
	global_load_dwordx4 v[53:56], v12, s[16:17]
	v_bfe_u32 v12, v61, 8, 8
	v_lshl_or_b32 v12, v12, 4, v37
	global_load_dwordx4 v[57:60], v12, s[16:17]
	s_waitcnt vmcnt(0)
	v_mul_f64 v[12:13], v[55:56], v[59:60]
	v_mul_f64 v[38:39], v[53:54], v[59:60]
	v_fma_f64 v[12:13], v[53:54], v[57:58], -v[12:13]
	v_bfe_u32 v53, v61, 16, 8
	v_lshl_or_b32 v53, v53, 4, v35
	v_fma_f64 v[38:39], v[55:56], v[57:58], v[38:39]
	global_load_dwordx4 v[53:56], v53, s[16:17]
	s_waitcnt vmcnt(0)
	v_mul_f64 v[57:58], v[38:39], v[55:56]
	v_fma_f64 v[57:58], v[53:54], v[12:13], -v[57:58]
	v_mul_f64 v[12:13], v[12:13], v[55:56]
	v_fma_f64 v[38:39], v[53:54], v[38:39], v[12:13]
	v_mul_f64 v[12:13], v[16:17], v[38:39]
	v_fma_f64 v[12:13], v[14:15], v[57:58], -v[12:13]
	v_mul_f64 v[14:15], v[14:15], v[38:39]
	v_fma_f64 v[14:15], v[16:17], v[57:58], v[14:15]
	v_add_u32_e32 v16, 40, v52
	v_mul_lo_u32 v61, v34, v16
	v_lshlrev_b32_sdwa v16, v36, v61 dst_sel:DWORD dst_unused:UNUSED_PAD src0_sel:DWORD src1_sel:BYTE_0
	global_load_dwordx4 v[53:56], v16, s[16:17]
	v_bfe_u32 v16, v61, 8, 8
	v_lshl_or_b32 v16, v16, 4, v37
	global_load_dwordx4 v[57:60], v16, s[16:17]
	s_waitcnt vmcnt(0)
	v_mul_f64 v[16:17], v[55:56], v[59:60]
	v_mul_f64 v[38:39], v[53:54], v[59:60]
	v_fma_f64 v[16:17], v[53:54], v[57:58], -v[16:17]
	v_bfe_u32 v53, v61, 16, 8
	v_lshl_or_b32 v53, v53, 4, v35
	v_fma_f64 v[38:39], v[55:56], v[57:58], v[38:39]
	global_load_dwordx4 v[53:56], v53, s[16:17]
	s_waitcnt vmcnt(0)
	v_mul_f64 v[57:58], v[38:39], v[55:56]
	v_fma_f64 v[57:58], v[53:54], v[16:17], -v[57:58]
	v_mul_f64 v[16:17], v[16:17], v[55:56]
	v_fma_f64 v[38:39], v[53:54], v[38:39], v[16:17]
	v_mul_f64 v[16:17], v[32:33], v[38:39]
	v_fma_f64 v[16:17], v[18:19], v[57:58], -v[16:17]
	v_mul_f64 v[18:19], v[18:19], v[38:39]
	v_fma_f64 v[18:19], v[32:33], v[57:58], v[18:19]
	v_add_u32_e32 v32, 50, v52
	v_mul_lo_u32 v61, v34, v32
	v_lshlrev_b32_sdwa v32, v36, v61 dst_sel:DWORD dst_unused:UNUSED_PAD src0_sel:DWORD src1_sel:BYTE_0
	global_load_dwordx4 v[53:56], v32, s[16:17]
	v_bfe_u32 v32, v61, 8, 8
	v_lshl_or_b32 v32, v32, 4, v37
	global_load_dwordx4 v[57:60], v32, s[16:17]
	s_waitcnt vmcnt(0)
	v_mul_f64 v[32:33], v[55:56], v[59:60]
	v_mul_f64 v[38:39], v[53:54], v[59:60]
	v_fma_f64 v[32:33], v[53:54], v[57:58], -v[32:33]
	v_bfe_u32 v53, v61, 16, 8
	v_lshl_or_b32 v53, v53, 4, v35
	v_fma_f64 v[38:39], v[55:56], v[57:58], v[38:39]
	global_load_dwordx4 v[53:56], v53, s[16:17]
	s_waitcnt vmcnt(0)
	v_mul_f64 v[57:58], v[38:39], v[55:56]
	v_fma_f64 v[57:58], v[53:54], v[32:33], -v[57:58]
	v_mul_f64 v[32:33], v[32:33], v[55:56]
	v_fma_f64 v[32:33], v[53:54], v[38:39], v[32:33]
	v_mul_f64 v[38:39], v[30:31], v[32:33]
	v_fma_f64 v[53:54], v[28:29], v[57:58], -v[38:39]
	v_mul_f64 v[28:29], v[28:29], v[32:33]
	v_fma_f64 v[55:56], v[30:31], v[57:58], v[28:29]
	v_add_u32_e32 v28, 60, v52
	v_mul_lo_u32 v61, v34, v28
	v_bfe_u32 v32, v61, 8, 8
	v_lshlrev_b32_sdwa v28, v36, v61 dst_sel:DWORD dst_unused:UNUSED_PAD src0_sel:DWORD src1_sel:BYTE_0
	v_lshl_or_b32 v32, v32, 4, v37
	global_load_dwordx4 v[28:31], v28, s[16:17]
	s_nop 0
	global_load_dwordx4 v[57:60], v32, s[16:17]
	s_waitcnt vmcnt(0)
	v_mul_f64 v[32:33], v[30:31], v[59:60]
	v_fma_f64 v[32:33], v[28:29], v[57:58], -v[32:33]
	v_mul_f64 v[28:29], v[28:29], v[59:60]
	v_fma_f64 v[38:39], v[30:31], v[57:58], v[28:29]
	v_bfe_u32 v28, v61, 16, 8
	v_lshl_or_b32 v28, v28, 4, v35
	global_load_dwordx4 v[28:31], v28, s[16:17]
	s_waitcnt vmcnt(0)
	v_mul_f64 v[57:58], v[38:39], v[30:31]
	v_mul_f64 v[30:31], v[32:33], v[30:31]
	v_fma_f64 v[57:58], v[28:29], v[32:33], -v[57:58]
	v_fma_f64 v[30:31], v[28:29], v[38:39], v[30:31]
	v_mul_f64 v[28:29], v[26:27], v[30:31]
	v_fma_f64 v[28:29], v[24:25], v[57:58], -v[28:29]
	v_mul_f64 v[24:25], v[24:25], v[30:31]
	v_fma_f64 v[30:31], v[26:27], v[57:58], v[24:25]
	v_add_u32_e32 v24, 0x46, v52
	v_mul_lo_u32 v34, v34, v24
	v_bfe_u32 v32, v34, 8, 8
	v_lshlrev_b32_sdwa v24, v36, v34 dst_sel:DWORD dst_unused:UNUSED_PAD src0_sel:DWORD src1_sel:BYTE_0
	v_lshl_or_b32 v32, v32, 4, v37
	global_load_dwordx4 v[24:27], v24, s[16:17]
	s_nop 0
	global_load_dwordx4 v[36:39], v32, s[16:17]
	s_waitcnt vmcnt(0)
	v_mul_f64 v[32:33], v[26:27], v[38:39]
	v_fma_f64 v[32:33], v[24:25], v[36:37], -v[32:33]
	v_mul_f64 v[24:25], v[24:25], v[38:39]
	v_fma_f64 v[36:37], v[26:27], v[36:37], v[24:25]
	v_bfe_u32 v24, v34, 16, 8
	v_lshl_or_b32 v24, v24, 4, v35
	global_load_dwordx4 v[24:27], v24, s[16:17]
	s_waitcnt vmcnt(0)
	s_barrier
	v_mul_f64 v[34:35], v[36:37], v[26:27]
	v_mul_f64 v[26:27], v[32:33], v[26:27]
	v_fma_f64 v[34:35], v[24:25], v[32:33], -v[34:35]
	v_fma_f64 v[26:27], v[24:25], v[36:37], v[26:27]
	v_mul_f64 v[24:25], v[20:21], v[26:27]
	v_fma_f64 v[24:25], v[22:23], v[34:35], -v[24:25]
	v_mul_f64 v[22:23], v[22:23], v[26:27]
	v_fma_f64 v[26:27], v[20:21], v[34:35], v[22:23]
	ds_write_b128 v51, v[0:3]
	ds_write_b128 v51, v[4:7] offset:160
	ds_write_b128 v51, v[8:11] offset:320
	;; [unrolled: 1-line block ×7, first 2 shown]
	s_waitcnt lgkmcnt(0)
	s_barrier
	s_and_saveexec_b64 s[4:5], s[0:1]
	s_cbranch_execz .LBB0_17
; %bb.16:
	v_mad_u64_u32 v[4:5], s[0:1], s10, v49, 0
	v_mad_u64_u32 v[6:7], s[0:1], s8, v42, 0
	v_mov_b32_e32 v0, v5
	v_mad_u64_u32 v[0:1], s[0:1], s11, v49, v[0:1]
	v_mov_b32_e32 v1, v7
	s_mul_i32 s3, s3, s24
	s_mul_hi_u32 s4, s2, s24
	v_mad_u64_u32 v[1:2], s[0:1], s9, v42, v[1:2]
	s_add_i32 s1, s4, s3
	s_mul_i32 s0, s2, s24
	s_lshl_b64 s[0:1], s[0:1], 4
	s_add_u32 s0, s14, s0
	v_lshlrev_b64 v[8:9], 4, v[40:41]
	s_addc_u32 s1, s15, s1
	v_mov_b32_e32 v10, s1
	v_add_co_u32_e32 v11, vcc, s0, v8
	v_mov_b32_e32 v5, v0
	v_addc_co_u32_e32 v10, vcc, v10, v9, vcc
	v_mad_u64_u32 v[8:9], s[0:1], s8, v48, 0
	v_lshlrev_b64 v[4:5], 4, v[4:5]
	v_mul_u32_u24_e32 v0, 0x500, v49
	v_mov_b32_e32 v7, v1
	v_add3_u32 v13, 0, v0, v50
	v_add_co_u32_e32 v14, vcc, v11, v4
	ds_read_b128 v[0:3], v13
	v_addc_co_u32_e32 v15, vcc, v10, v5, vcc
	v_lshlrev_b64 v[4:5], 4, v[6:7]
	v_mov_b32_e32 v6, v9
	v_mad_u64_u32 v[9:10], s[0:1], s9, v48, v[6:7]
	v_add_co_u32_e32 v10, vcc, v14, v4
	v_addc_co_u32_e32 v11, vcc, v15, v5, vcc
	ds_read_b128 v[4:7], v13 offset:160
	s_waitcnt lgkmcnt(1)
	global_store_dwordx4 v[10:11], v[0:3], off
	v_mad_u64_u32 v[10:11], s[0:1], s8, v46, 0
	v_lshlrev_b64 v[0:1], 4, v[8:9]
	v_mad_u64_u32 v[8:9], s[0:1], s8, v47, 0
	v_add_co_u32_e32 v0, vcc, v14, v0
	v_mov_b32_e32 v2, v9
	v_mad_u64_u32 v[2:3], s[0:1], s9, v47, v[2:3]
	v_addc_co_u32_e32 v1, vcc, v15, v1, vcc
	s_waitcnt lgkmcnt(0)
	global_store_dwordx4 v[0:1], v[4:7], off
	v_mov_b32_e32 v9, v2
	ds_read_b128 v[0:3], v13 offset:320
	v_mov_b32_e32 v6, v11
	v_lshlrev_b64 v[4:5], 4, v[8:9]
	v_mad_u64_u32 v[8:9], s[0:1], s9, v46, v[6:7]
	v_add_co_u32_e32 v11, vcc, v14, v4
	v_addc_co_u32_e32 v12, vcc, v15, v5, vcc
	ds_read_b128 v[4:7], v13 offset:480
	s_waitcnt lgkmcnt(1)
	global_store_dwordx4 v[11:12], v[0:3], off
	v_mov_b32_e32 v11, v8
	v_mad_u64_u32 v[8:9], s[0:1], s8, v45, 0
	v_lshlrev_b64 v[0:1], 4, v[10:11]
	v_mad_u64_u32 v[10:11], s[0:1], s8, v44, 0
	v_mov_b32_e32 v2, v9
	v_mad_u64_u32 v[2:3], s[0:1], s9, v45, v[2:3]
	v_add_co_u32_e32 v0, vcc, v14, v0
	v_addc_co_u32_e32 v1, vcc, v15, v1, vcc
	s_waitcnt lgkmcnt(0)
	global_store_dwordx4 v[0:1], v[4:7], off
	v_mov_b32_e32 v9, v2
	ds_read_b128 v[0:3], v13 offset:640
	v_mov_b32_e32 v6, v11
	v_lshlrev_b64 v[4:5], 4, v[8:9]
	v_mad_u64_u32 v[8:9], s[0:1], s9, v44, v[6:7]
	v_add_co_u32_e32 v11, vcc, v14, v4
	v_addc_co_u32_e32 v12, vcc, v15, v5, vcc
	ds_read_b128 v[4:7], v13 offset:800
	s_waitcnt lgkmcnt(1)
	global_store_dwordx4 v[11:12], v[0:3], off
	v_mov_b32_e32 v11, v8
	v_lshlrev_b64 v[0:1], 4, v[10:11]
	v_mad_u64_u32 v[8:9], s[0:1], s8, v43, 0
	v_add_co_u32_e32 v0, vcc, v14, v0
	v_addc_co_u32_e32 v1, vcc, v15, v1, vcc
	s_waitcnt lgkmcnt(0)
	global_store_dwordx4 v[0:1], v[4:7], off
	v_mov_b32_e32 v0, v9
	v_add_u32_e32 v7, 0x46, v42
	v_mad_u64_u32 v[0:1], s[0:1], s9, v43, v[0:1]
	v_mad_u64_u32 v[10:11], s[0:1], s8, v7, 0
	v_mov_b32_e32 v9, v0
	ds_read_b128 v[0:3], v13 offset:960
	v_mov_b32_e32 v6, v11
	v_lshlrev_b64 v[4:5], 4, v[8:9]
	v_mad_u64_u32 v[8:9], s[0:1], s9, v7, v[6:7]
	v_add_co_u32_e32 v11, vcc, v14, v4
	v_addc_co_u32_e32 v12, vcc, v15, v5, vcc
	ds_read_b128 v[4:7], v13 offset:1120
	s_waitcnt lgkmcnt(1)
	global_store_dwordx4 v[11:12], v[0:3], off
	v_mov_b32_e32 v11, v8
	v_lshlrev_b64 v[0:1], 4, v[10:11]
	v_add_co_u32_e32 v0, vcc, v14, v0
	v_addc_co_u32_e32 v1, vcc, v15, v1, vcc
	s_waitcnt lgkmcnt(0)
	global_store_dwordx4 v[0:1], v[4:7], off
.LBB0_17:
	s_endpgm
	.section	.rodata,"a",@progbits
	.p2align	6, 0x0
	.amdhsa_kernel fft_rtc_fwd_len80_factors_10_8_wgs_160_tpt_10_dp_op_CI_CI_sbcc_twdbase8_3step
		.amdhsa_group_segment_fixed_size 0
		.amdhsa_private_segment_fixed_size 0
		.amdhsa_kernarg_size 112
		.amdhsa_user_sgpr_count 6
		.amdhsa_user_sgpr_private_segment_buffer 1
		.amdhsa_user_sgpr_dispatch_ptr 0
		.amdhsa_user_sgpr_queue_ptr 0
		.amdhsa_user_sgpr_kernarg_segment_ptr 1
		.amdhsa_user_sgpr_dispatch_id 0
		.amdhsa_user_sgpr_flat_scratch_init 0
		.amdhsa_user_sgpr_private_segment_size 0
		.amdhsa_uses_dynamic_stack 0
		.amdhsa_system_sgpr_private_segment_wavefront_offset 0
		.amdhsa_system_sgpr_workgroup_id_x 1
		.amdhsa_system_sgpr_workgroup_id_y 0
		.amdhsa_system_sgpr_workgroup_id_z 0
		.amdhsa_system_sgpr_workgroup_info 0
		.amdhsa_system_vgpr_workitem_id 0
		.amdhsa_next_free_vgpr 93
		.amdhsa_next_free_sgpr 53
		.amdhsa_reserve_vcc 1
		.amdhsa_reserve_flat_scratch 0
		.amdhsa_float_round_mode_32 0
		.amdhsa_float_round_mode_16_64 0
		.amdhsa_float_denorm_mode_32 3
		.amdhsa_float_denorm_mode_16_64 3
		.amdhsa_dx10_clamp 1
		.amdhsa_ieee_mode 1
		.amdhsa_fp16_overflow 0
		.amdhsa_exception_fp_ieee_invalid_op 0
		.amdhsa_exception_fp_denorm_src 0
		.amdhsa_exception_fp_ieee_div_zero 0
		.amdhsa_exception_fp_ieee_overflow 0
		.amdhsa_exception_fp_ieee_underflow 0
		.amdhsa_exception_fp_ieee_inexact 0
		.amdhsa_exception_int_div_zero 0
	.end_amdhsa_kernel
	.text
.Lfunc_end0:
	.size	fft_rtc_fwd_len80_factors_10_8_wgs_160_tpt_10_dp_op_CI_CI_sbcc_twdbase8_3step, .Lfunc_end0-fft_rtc_fwd_len80_factors_10_8_wgs_160_tpt_10_dp_op_CI_CI_sbcc_twdbase8_3step
                                        ; -- End function
	.section	.AMDGPU.csdata,"",@progbits
; Kernel info:
; codeLenInByte = 6528
; NumSgprs: 57
; NumVgprs: 93
; ScratchSize: 0
; MemoryBound: 0
; FloatMode: 240
; IeeeMode: 1
; LDSByteSize: 0 bytes/workgroup (compile time only)
; SGPRBlocks: 7
; VGPRBlocks: 23
; NumSGPRsForWavesPerEU: 57
; NumVGPRsForWavesPerEU: 93
; Occupancy: 2
; WaveLimiterHint : 1
; COMPUTE_PGM_RSRC2:SCRATCH_EN: 0
; COMPUTE_PGM_RSRC2:USER_SGPR: 6
; COMPUTE_PGM_RSRC2:TRAP_HANDLER: 0
; COMPUTE_PGM_RSRC2:TGID_X_EN: 1
; COMPUTE_PGM_RSRC2:TGID_Y_EN: 0
; COMPUTE_PGM_RSRC2:TGID_Z_EN: 0
; COMPUTE_PGM_RSRC2:TIDIG_COMP_CNT: 0
	.type	__hip_cuid_d88f120a2539fc28,@object ; @__hip_cuid_d88f120a2539fc28
	.section	.bss,"aw",@nobits
	.globl	__hip_cuid_d88f120a2539fc28
__hip_cuid_d88f120a2539fc28:
	.byte	0                               ; 0x0
	.size	__hip_cuid_d88f120a2539fc28, 1

	.ident	"AMD clang version 19.0.0git (https://github.com/RadeonOpenCompute/llvm-project roc-6.4.0 25133 c7fe45cf4b819c5991fe208aaa96edf142730f1d)"
	.section	".note.GNU-stack","",@progbits
	.addrsig
	.addrsig_sym __hip_cuid_d88f120a2539fc28
	.amdgpu_metadata
---
amdhsa.kernels:
  - .args:
      - .actual_access:  read_only
        .address_space:  global
        .offset:         0
        .size:           8
        .value_kind:     global_buffer
      - .address_space:  global
        .offset:         8
        .size:           8
        .value_kind:     global_buffer
      - .offset:         16
        .size:           8
        .value_kind:     by_value
      - .actual_access:  read_only
        .address_space:  global
        .offset:         24
        .size:           8
        .value_kind:     global_buffer
      - .actual_access:  read_only
        .address_space:  global
        .offset:         32
        .size:           8
        .value_kind:     global_buffer
      - .actual_access:  read_only
        .address_space:  global
        .offset:         40
        .size:           8
        .value_kind:     global_buffer
      - .offset:         48
        .size:           8
        .value_kind:     by_value
      - .actual_access:  read_only
        .address_space:  global
        .offset:         56
        .size:           8
        .value_kind:     global_buffer
      - .actual_access:  read_only
        .address_space:  global
        .offset:         64
        .size:           8
        .value_kind:     global_buffer
      - .offset:         72
        .size:           4
        .value_kind:     by_value
      - .actual_access:  read_only
        .address_space:  global
        .offset:         80
        .size:           8
        .value_kind:     global_buffer
      - .actual_access:  read_only
        .address_space:  global
        .offset:         88
        .size:           8
        .value_kind:     global_buffer
      - .actual_access:  read_only
        .address_space:  global
        .offset:         96
        .size:           8
        .value_kind:     global_buffer
      - .actual_access:  write_only
        .address_space:  global
        .offset:         104
        .size:           8
        .value_kind:     global_buffer
    .group_segment_fixed_size: 0
    .kernarg_segment_align: 8
    .kernarg_segment_size: 112
    .language:       OpenCL C
    .language_version:
      - 2
      - 0
    .max_flat_workgroup_size: 160
    .name:           fft_rtc_fwd_len80_factors_10_8_wgs_160_tpt_10_dp_op_CI_CI_sbcc_twdbase8_3step
    .private_segment_fixed_size: 0
    .sgpr_count:     57
    .sgpr_spill_count: 0
    .symbol:         fft_rtc_fwd_len80_factors_10_8_wgs_160_tpt_10_dp_op_CI_CI_sbcc_twdbase8_3step.kd
    .uniform_work_group_size: 1
    .uses_dynamic_stack: false
    .vgpr_count:     93
    .vgpr_spill_count: 0
    .wavefront_size: 64
amdhsa.target:   amdgcn-amd-amdhsa--gfx906
amdhsa.version:
  - 1
  - 2
...

	.end_amdgpu_metadata
